;; amdgpu-corpus repo=ROCm/rocFFT kind=compiled arch=gfx1201 opt=O3
	.text
	.amdgcn_target "amdgcn-amd-amdhsa--gfx1201"
	.amdhsa_code_object_version 6
	.protected	bluestein_single_back_len1470_dim1_dp_op_CI_CI ; -- Begin function bluestein_single_back_len1470_dim1_dp_op_CI_CI
	.globl	bluestein_single_back_len1470_dim1_dp_op_CI_CI
	.p2align	8
	.type	bluestein_single_back_len1470_dim1_dp_op_CI_CI,@function
bluestein_single_back_len1470_dim1_dp_op_CI_CI: ; @bluestein_single_back_len1470_dim1_dp_op_CI_CI
; %bb.0:
	s_load_b128 s[8:11], s[0:1], 0x28
	v_mul_u32_u24_e32 v1, 0x139, v0
	s_mov_b32 s2, exec_lo
	v_mov_b32_e32 v153, 0
	s_delay_alu instid0(VALU_DEP_2) | instskip(NEXT) | instid1(VALU_DEP_1)
	v_lshrrev_b32_e32 v1, 16, v1
	v_add_nc_u32_e32 v152, ttmp9, v1
	s_wait_kmcnt 0x0
	s_delay_alu instid0(VALU_DEP_1)
	v_cmpx_gt_u64_e64 s[8:9], v[152:153]
	s_cbranch_execz .LBB0_31
; %bb.1:
	s_clause 0x1
	s_load_b128 s[4:7], s[0:1], 0x18
	s_load_b64 s[16:17], s[0:1], 0x0
	v_mul_lo_u16 v1, 0xd2, v1
	s_movk_i32 s2, 0xfdf3
	s_mov_b32 s3, -1
	s_delay_alu instid0(VALU_DEP_1) | instskip(NEXT) | instid1(VALU_DEP_1)
	v_sub_nc_u16 v74, v0, v1
	v_and_b32_e32 v156, 0xffff, v74
	s_wait_kmcnt 0x0
	s_load_b128 s[12:15], s[4:5], 0x0
	s_wait_kmcnt 0x0
	v_mad_co_u64_u32 v[4:5], null, s14, v152, 0
	v_mad_co_u64_u32 v[12:13], null, s12, v156, 0
	s_mul_u64 s[4:5], s[12:13], 0x2df
	s_mul_u64 s[2:3], s[12:13], s[2:3]
	s_delay_alu instid0(SALU_CYCLE_1) | instskip(NEXT) | instid1(VALU_DEP_1)
	s_lshl_b64 s[2:3], s[2:3], 4
	v_dual_mov_b32 v1, v13 :: v_dual_mov_b32 v0, v5
	v_lshlrev_b32_e32 v155, 4, v156
	s_delay_alu instid0(VALU_DEP_2) | instskip(NEXT) | instid1(VALU_DEP_2)
	v_mad_co_u64_u32 v[2:3], null, s15, v152, v[0:1]
	v_add_co_u32 v153, s12, s16, v155
	s_wait_alu 0xf1ff
	v_add_co_ci_u32_e64 v154, null, s17, 0, s12
	s_delay_alu instid0(VALU_DEP_3)
	v_mad_co_u64_u32 v[6:7], null, s13, v156, v[1:2]
	v_mov_b32_e32 v5, v2
	global_load_b128 v[0:3], v155, s[16:17] offset:11760
	v_lshlrev_b64_e32 v[14:15], 4, v[4:5]
	v_mov_b32_e32 v13, v6
	s_clause 0x1
	global_load_b128 v[4:7], v155, s[16:17]
	global_load_b128 v[8:11], v155, s[16:17] offset:3360
	v_lshlrev_b64_e32 v[12:13], 4, v[12:13]
	v_add_co_u32 v14, vcc_lo, s10, v14
	v_add_co_ci_u32_e32 v15, vcc_lo, s11, v15, vcc_lo
	s_lshl_b64 s[10:11], s[4:5], 4
	s_delay_alu instid0(VALU_DEP_2) | instskip(SKIP_1) | instid1(VALU_DEP_2)
	v_add_co_u32 v16, vcc_lo, v14, v12
	s_wait_alu 0xfffd
	v_add_co_ci_u32_e32 v17, vcc_lo, v15, v13, vcc_lo
	global_load_b128 v[12:15], v155, s[16:17] offset:15120
	s_wait_alu 0xfffe
	v_add_co_u32 v18, vcc_lo, v16, s10
	s_wait_alu 0xfffd
	v_add_co_ci_u32_e32 v19, vcc_lo, s11, v17, vcc_lo
	s_clause 0x1
	global_load_b128 v[26:29], v[16:17], off
	global_load_b128 v[30:33], v[18:19], off
	v_add_co_u32 v20, vcc_lo, v18, s2
	s_wait_alu 0xfffd
	v_add_co_ci_u32_e32 v21, vcc_lo, s3, v19, vcc_lo
	s_delay_alu instid0(VALU_DEP_2) | instskip(SKIP_1) | instid1(VALU_DEP_2)
	v_add_co_u32 v22, vcc_lo, v20, s10
	s_wait_alu 0xfffd
	v_add_co_ci_u32_e32 v23, vcc_lo, s11, v21, vcc_lo
	global_load_b128 v[34:37], v[20:21], off
	v_add_co_u32 v42, vcc_lo, v22, s2
	s_wait_alu 0xfffd
	v_add_co_ci_u32_e32 v43, vcc_lo, s3, v23, vcc_lo
	s_delay_alu instid0(VALU_DEP_2) | instskip(SKIP_1) | instid1(VALU_DEP_2)
	v_add_co_u32 v24, vcc_lo, v42, s10
	s_wait_alu 0xfffd
	v_add_co_ci_u32_e32 v25, vcc_lo, s11, v43, vcc_lo
	global_load_b128 v[38:41], v[22:23], off
	global_load_b128 v[16:19], v155, s[16:17] offset:6720
	global_load_b128 v[42:45], v[42:43], off
	global_load_b128 v[20:23], v155, s[16:17] offset:18480
	global_load_b128 v[46:49], v[24:25], off
	s_load_b64 s[8:9], s[0:1], 0x38
	s_load_b128 s[4:7], s[6:7], 0x0
	v_cmp_gt_u16_e32 vcc_lo, 0x69, v74
	s_wait_loadcnt 0x7
	v_mul_f64_e32 v[50:51], v[28:29], v[6:7]
	v_mul_f64_e32 v[52:53], v[26:27], v[6:7]
	s_wait_loadcnt 0x6
	v_mul_f64_e32 v[54:55], v[32:33], v[2:3]
	v_mul_f64_e32 v[56:57], v[30:31], v[2:3]
	s_wait_loadcnt 0x5
	v_mul_f64_e32 v[58:59], v[36:37], v[10:11]
	v_mul_f64_e32 v[60:61], v[34:35], v[10:11]
	s_wait_loadcnt 0x4
	v_mul_f64_e32 v[62:63], v[40:41], v[14:15]
	v_mul_f64_e32 v[64:65], v[38:39], v[14:15]
	s_wait_loadcnt 0x2
	v_mul_f64_e32 v[66:67], v[44:45], v[18:19]
	v_mul_f64_e32 v[68:69], v[42:43], v[18:19]
	s_wait_loadcnt 0x0
	v_mul_f64_e32 v[70:71], v[48:49], v[22:23]
	v_mul_f64_e32 v[72:73], v[46:47], v[22:23]
	v_fma_f64 v[26:27], v[26:27], v[4:5], v[50:51]
	v_fma_f64 v[28:29], v[28:29], v[4:5], -v[52:53]
	v_fma_f64 v[30:31], v[30:31], v[0:1], v[54:55]
	v_fma_f64 v[32:33], v[32:33], v[0:1], -v[56:57]
	;; [unrolled: 2-line block ×3, first 2 shown]
	ds_store_b128 v155, v[26:29]
	ds_store_b128 v155, v[34:37] offset:3360
	v_fma_f64 v[42:43], v[42:43], v[16:17], v[66:67]
	v_fma_f64 v[44:45], v[44:45], v[16:17], -v[68:69]
	v_fma_f64 v[38:39], v[38:39], v[12:13], v[62:63]
	v_fma_f64 v[40:41], v[40:41], v[12:13], -v[64:65]
	;; [unrolled: 2-line block ×3, first 2 shown]
	ds_store_b128 v155, v[30:33] offset:11760
	ds_store_b128 v155, v[42:45] offset:6720
	ds_store_b128 v155, v[38:41] offset:15120
	ds_store_b128 v155, v[46:49] offset:18480
	s_and_saveexec_b32 s12, vcc_lo
	s_cbranch_execz .LBB0_3
; %bb.2:
	v_add_co_u32 v24, s2, v24, s2
	s_wait_alu 0xf1ff
	v_add_co_ci_u32_e64 v25, s2, s3, v25, s2
	s_delay_alu instid0(VALU_DEP_2) | instskip(SKIP_1) | instid1(VALU_DEP_2)
	v_add_co_u32 v36, s2, v24, s10
	s_wait_alu 0xf1ff
	v_add_co_ci_u32_e64 v37, s2, s11, v25, s2
	global_load_b128 v[24:27], v[24:25], off
	s_clause 0x1
	global_load_b128 v[28:31], v[153:154], off offset:10080
	global_load_b128 v[32:35], v[153:154], off offset:21840
	global_load_b128 v[36:39], v[36:37], off
	s_wait_loadcnt 0x2
	v_mul_f64_e32 v[40:41], v[26:27], v[30:31]
	v_mul_f64_e32 v[30:31], v[24:25], v[30:31]
	s_wait_loadcnt 0x0
	v_mul_f64_e32 v[42:43], v[38:39], v[34:35]
	v_mul_f64_e32 v[34:35], v[36:37], v[34:35]
	s_delay_alu instid0(VALU_DEP_4) | instskip(NEXT) | instid1(VALU_DEP_4)
	v_fma_f64 v[24:25], v[24:25], v[28:29], v[40:41]
	v_fma_f64 v[26:27], v[26:27], v[28:29], -v[30:31]
	s_delay_alu instid0(VALU_DEP_4) | instskip(NEXT) | instid1(VALU_DEP_4)
	v_fma_f64 v[28:29], v[36:37], v[32:33], v[42:43]
	v_fma_f64 v[30:31], v[38:39], v[32:33], -v[34:35]
	ds_store_b128 v155, v[24:27] offset:10080
	ds_store_b128 v155, v[28:31] offset:21840
.LBB0_3:
	s_wait_alu 0xfffe
	s_or_b32 exec_lo, exec_lo, s12
	global_wb scope:SCOPE_SE
	s_wait_dscnt 0x0
	s_wait_kmcnt 0x0
	s_barrier_signal -1
	s_barrier_wait -1
	global_inv scope:SCOPE_SE
	ds_load_b128 v[24:27], v155
	ds_load_b128 v[28:31], v155 offset:3360
	ds_load_b128 v[52:55], v155 offset:11760
	;; [unrolled: 1-line block ×5, first 2 shown]
                                        ; implicit-def: $vgpr40_vgpr41
                                        ; implicit-def: $vgpr44_vgpr45
	s_and_saveexec_b32 s2, vcc_lo
	s_cbranch_execz .LBB0_5
; %bb.4:
	ds_load_b128 v[40:43], v155 offset:10080
	ds_load_b128 v[44:47], v155 offset:21840
.LBB0_5:
	s_wait_alu 0xfffe
	s_or_b32 exec_lo, exec_lo, s2
	s_wait_dscnt 0x3
	v_add_f64_e64 v[52:53], v[24:25], -v[52:53]
	v_add_f64_e64 v[54:55], v[26:27], -v[54:55]
	s_wait_dscnt 0x0
	v_add_f64_e64 v[56:57], v[36:37], -v[32:33]
	v_add_f64_e64 v[58:59], v[38:39], -v[34:35]
	;; [unrolled: 1-line block ×6, first 2 shown]
	s_load_b64 s[2:3], s[0:1], 0x8
	v_add_co_u32 v104, null, 0xd2, v156
	v_add_co_u32 v68, null, 0x1a4, v156
	global_wb scope:SCOPE_SE
	v_lshlrev_b32_e32 v160, 5, v104
	s_wait_kmcnt 0x0
	s_barrier_signal -1
	v_lshlrev_b32_e32 v161, 5, v68
	s_barrier_wait -1
	global_inv scope:SCOPE_SE
	v_fma_f64 v[44:45], v[24:25], 2.0, -v[52:53]
	v_fma_f64 v[46:47], v[26:27], 2.0, -v[54:55]
	;; [unrolled: 1-line block ×8, first 2 shown]
	v_lshlrev_b16 v40, 1, v156
	v_add_co_u32 v41, null, 0x276, v156
	s_delay_alu instid0(VALU_DEP_2) | instskip(NEXT) | instid1(VALU_DEP_2)
	v_and_b32_e32 v40, 0xffff, v40
	v_lshlrev_b32_e32 v158, 5, v41
	s_delay_alu instid0(VALU_DEP_2)
	v_lshlrev_b32_e32 v159, 4, v40
	ds_store_b128 v159, v[44:47]
	ds_store_b128 v159, v[52:55] offset:16
	ds_store_b128 v160, v[28:31]
	ds_store_b128 v160, v[48:51] offset:16
	;; [unrolled: 2-line block ×3, first 2 shown]
	s_and_saveexec_b32 s0, vcc_lo
	s_cbranch_execz .LBB0_7
; %bb.6:
	ds_store_b128 v158, v[24:27]
	ds_store_b128 v158, v[32:35] offset:16
.LBB0_7:
	s_wait_alu 0xfffe
	s_or_b32 exec_lo, exec_lo, s0
	global_wb scope:SCOPE_SE
	s_wait_dscnt 0x0
	s_barrier_signal -1
	s_barrier_wait -1
	global_inv scope:SCOPE_SE
	ds_load_b128 v[36:39], v155
	ds_load_b128 v[28:31], v155 offset:3360
	ds_load_b128 v[56:59], v155 offset:7840
	;; [unrolled: 1-line block ×5, first 2 shown]
	v_cmp_gt_u16_e64 s1, 0x46, v156
                                        ; implicit-def: $vgpr64_vgpr65
	s_delay_alu instid0(VALU_DEP_1)
	s_and_saveexec_b32 s0, s1
	s_cbranch_execz .LBB0_9
; %bb.8:
	ds_load_b128 v[24:27], v155 offset:6720
	ds_load_b128 v[32:35], v155 offset:14560
	ds_load_b128 v[64:67], v155 offset:22400
.LBB0_9:
	s_wait_alu 0xfffe
	s_or_b32 exec_lo, exec_lo, s0
	v_and_b32_e32 v157, 1, v156
	s_mov_b32 s10, 0xe8584caa
	s_mov_b32 s11, 0x3febb67a
	;; [unrolled: 1-line block ×3, first 2 shown]
	s_wait_alu 0xfffe
	s_mov_b32 s12, s10
	v_lshlrev_b32_e32 v40, 5, v157
	v_lshrrev_b32_e32 v162, 1, v68
	s_clause 0x1
	global_load_b128 v[44:47], v40, s[2:3]
	global_load_b128 v[40:43], v40, s[2:3] offset:16
	global_wb scope:SCOPE_SE
	s_wait_loadcnt_dscnt 0x0
	s_barrier_signal -1
	s_barrier_wait -1
	global_inv scope:SCOPE_SE
	v_mul_f64_e32 v[69:70], v[58:59], v[46:47]
	v_mul_f64_e32 v[71:72], v[62:63], v[42:43]
	;; [unrolled: 1-line block ×12, first 2 shown]
	v_fma_f64 v[56:57], v[56:57], v[44:45], -v[69:70]
	v_fma_f64 v[60:61], v[60:61], v[40:41], -v[71:72]
	v_fma_f64 v[48:49], v[48:49], v[44:45], -v[77:78]
	v_fma_f64 v[52:53], v[52:53], v[40:41], -v[79:80]
	v_fma_f64 v[50:51], v[50:51], v[44:45], v[81:82]
	v_fma_f64 v[54:55], v[54:55], v[40:41], v[83:84]
	v_fma_f64 v[32:33], v[32:33], v[44:45], -v[85:86]
	v_fma_f64 v[64:65], v[64:65], v[40:41], -v[87:88]
	v_fma_f64 v[34:35], v[34:35], v[44:45], v[89:90]
	v_fma_f64 v[66:67], v[66:67], v[40:41], v[91:92]
	;; [unrolled: 1-line block ×4, first 2 shown]
	v_add_f64_e32 v[81:82], v[36:37], v[56:57]
	v_add_f64_e32 v[69:70], v[56:57], v[60:61]
	v_add_f64_e64 v[56:57], v[56:57], -v[60:61]
	v_add_f64_e32 v[73:74], v[48:49], v[52:53]
	v_add_f64_e32 v[87:88], v[30:31], v[50:51]
	;; [unrolled: 1-line block ×7, first 2 shown]
	v_add_f64_e64 v[50:51], v[50:51], -v[54:55]
	v_add_f64_e32 v[71:72], v[58:59], v[62:63]
	v_add_f64_e64 v[83:84], v[58:59], -v[62:63]
	v_add_f64_e32 v[58:59], v[38:39], v[58:59]
	v_add_f64_e64 v[93:94], v[48:49], -v[52:53]
	v_add_f64_e64 v[97:98], v[34:35], -v[66:67]
	;; [unrolled: 1-line block ×3, first 2 shown]
	v_add_f64_e32 v[85:86], v[28:29], v[48:49]
	v_fma_f64 v[36:37], v[69:70], -0.5, v[36:37]
	v_fma_f64 v[69:70], v[73:74], -0.5, v[28:29]
	;; [unrolled: 1-line block ×3, first 2 shown]
	v_add_f64_e32 v[30:31], v[87:88], v[54:55]
	v_fma_f64 v[99:100], v[77:78], -0.5, v[24:25]
	v_add_f64_e32 v[24:25], v[81:82], v[60:61]
	v_fma_f64 v[105:106], v[79:80], -0.5, v[26:27]
	;; [unrolled: 2-line block ×3, first 2 shown]
	v_add_f64_e32 v[72:73], v[89:90], v[64:65]
	v_add_f64_e32 v[26:27], v[58:59], v[62:63]
	;; [unrolled: 1-line block ×3, first 2 shown]
	v_lshrrev_b32_e32 v52, 1, v156
	v_lshrrev_b32_e32 v53, 1, v104
	s_delay_alu instid0(VALU_DEP_2) | instskip(NEXT) | instid1(VALU_DEP_2)
	v_mul_u32_u24_e32 v52, 6, v52
	v_mul_u32_u24_e32 v53, 6, v53
	s_delay_alu instid0(VALU_DEP_2) | instskip(NEXT) | instid1(VALU_DEP_2)
	v_or_b32_e32 v52, v52, v157
	v_or_b32_e32 v53, v53, v157
	s_delay_alu instid0(VALU_DEP_2) | instskip(NEXT) | instid1(VALU_DEP_2)
	v_lshlrev_b32_e32 v164, 4, v52
	v_lshlrev_b32_e32 v163, 4, v53
	v_fma_f64 v[32:33], v[83:84], s[10:11], v[36:37]
	s_wait_alu 0xfffe
	v_fma_f64 v[36:37], v[83:84], s[12:13], v[36:37]
	v_fma_f64 v[64:65], v[50:51], s[12:13], v[69:70]
	;; [unrolled: 1-line block ×11, first 2 shown]
	ds_store_b128 v164, v[24:27]
	ds_store_b128 v164, v[32:35] offset:32
	ds_store_b128 v164, v[36:39] offset:64
	ds_store_b128 v163, v[28:31]
	ds_store_b128 v163, v[48:51] offset:32
	ds_store_b128 v163, v[64:67] offset:64
	s_and_saveexec_b32 s0, s1
	s_cbranch_execz .LBB0_11
; %bb.10:
	v_mul_u32_u24_e32 v24, 6, v162
	s_delay_alu instid0(VALU_DEP_1) | instskip(NEXT) | instid1(VALU_DEP_1)
	v_or_b32_e32 v24, v24, v157
	v_lshlrev_b32_e32 v24, 4, v24
	ds_store_b128 v24, v[72:75]
	ds_store_b128 v24, v[76:79] offset:32
	ds_store_b128 v24, v[80:83] offset:64
.LBB0_11:
	s_wait_alu 0xfffe
	s_or_b32 exec_lo, exec_lo, s0
	global_wb scope:SCOPE_SE
	s_wait_dscnt 0x0
	s_barrier_signal -1
	s_barrier_wait -1
	global_inv scope:SCOPE_SE
	ds_load_b128 v[68:71], v155
	ds_load_b128 v[96:99], v155 offset:4704
	ds_load_b128 v[92:95], v155 offset:9408
	ds_load_b128 v[84:87], v155 offset:14112
	ds_load_b128 v[88:91], v155 offset:18816
	v_cmp_gt_u16_e64 s0, 0x54, v156
                                        ; implicit-def: $vgpr100_vgpr101
	s_delay_alu instid0(VALU_DEP_1)
	s_and_saveexec_b32 s10, s0
	s_cbranch_execz .LBB0_13
; %bb.12:
	ds_load_b128 v[64:67], v155 offset:3360
	ds_load_b128 v[72:75], v155 offset:8064
	;; [unrolled: 1-line block ×5, first 2 shown]
.LBB0_13:
	s_wait_alu 0xfffe
	s_or_b32 exec_lo, exec_lo, s10
	v_and_b32_e32 v105, 0xff, v156
	v_and_b32_e32 v24, 0xffff, v104
	s_mov_b32 s13, 0xbfee6f0e
	s_mov_b32 s15, 0xbfe2cf23
	s_delay_alu instid0(VALU_DEP_2) | instskip(NEXT) | instid1(VALU_DEP_2)
	v_mul_lo_u16 v25, 0xab, v105
	v_mul_u32_u24_e32 v24, 0xaaab, v24
	s_delay_alu instid0(VALU_DEP_2) | instskip(NEXT) | instid1(VALU_DEP_2)
	v_lshrrev_b16 v195, 10, v25
	v_lshrrev_b32_e32 v196, 18, v24
	s_delay_alu instid0(VALU_DEP_2) | instskip(NEXT) | instid1(VALU_DEP_2)
	v_mul_lo_u16 v24, v195, 6
	v_mul_lo_u16 v25, v196, 6
	s_delay_alu instid0(VALU_DEP_2) | instskip(NEXT) | instid1(VALU_DEP_2)
	v_sub_nc_u16 v24, v156, v24
	v_sub_nc_u16 v104, v104, v25
	s_delay_alu instid0(VALU_DEP_2) | instskip(NEXT) | instid1(VALU_DEP_2)
	v_and_b32_e32 v197, 0xff, v24
	v_lshlrev_b16 v24, 6, v104
	s_delay_alu instid0(VALU_DEP_2) | instskip(NEXT) | instid1(VALU_DEP_2)
	v_lshlrev_b32_e32 v25, 6, v197
	v_and_b32_e32 v24, 0xffff, v24
	s_clause 0x2
	global_load_b128 v[48:51], v25, s[2:3] offset:96
	global_load_b128 v[52:55], v25, s[2:3] offset:80
	;; [unrolled: 1-line block ×3, first 2 shown]
	v_add_co_u32 v28, s10, s2, v24
	s_wait_alu 0xf1ff
	v_add_co_ci_u32_e64 v29, null, s3, 0, s10
	s_mov_b32 s10, 0x134454ff
	s_clause 0x4
	global_load_b128 v[56:59], v25, s[2:3] offset:112
	global_load_b128 v[24:27], v[28:29], off offset:64
	global_load_b128 v[36:39], v[28:29], off offset:80
	;; [unrolled: 1-line block ×4, first 2 shown]
	s_mov_b32 s11, 0x3fee6f0e
	s_wait_alu 0xfffe
	s_mov_b32 s12, s10
	global_wb scope:SCOPE_SE
	s_wait_loadcnt_dscnt 0x0
	s_barrier_signal -1
	s_barrier_wait -1
	global_inv scope:SCOPE_SE
	v_mul_f64_e32 v[112:113], v[86:87], v[50:51]
	v_mul_f64_e32 v[110:111], v[94:95], v[54:55]
	;; [unrolled: 1-line block ×16, first 2 shown]
	v_fma_f64 v[112:113], v[84:85], v[48:49], -v[112:113]
	v_fma_f64 v[110:111], v[92:93], v[52:53], -v[110:111]
	;; [unrolled: 1-line block ×3, first 2 shown]
	v_fma_f64 v[108:109], v[98:99], v[60:61], v[108:109]
	v_fma_f64 v[114:115], v[94:95], v[52:53], v[114:115]
	v_fma_f64 v[88:89], v[88:89], v[56:57], -v[116:117]
	v_fma_f64 v[116:117], v[86:87], v[48:49], v[118:119]
	v_fma_f64 v[90:91], v[90:91], v[56:57], v[120:121]
	v_fma_f64 v[86:87], v[72:73], v[24:25], -v[122:123]
	v_fma_f64 v[92:93], v[74:75], v[24:25], v[124:125]
	v_fma_f64 v[84:85], v[76:77], v[36:37], -v[126:127]
	v_fma_f64 v[74:75], v[80:81], v[32:33], -v[128:129]
	;; [unrolled: 1-line block ×3, first 2 shown]
	v_fma_f64 v[80:81], v[78:79], v[36:37], v[132:133]
	v_fma_f64 v[78:79], v[82:83], v[32:33], v[134:135]
	;; [unrolled: 1-line block ×3, first 2 shown]
	v_add_f64_e32 v[82:83], v[110:111], v[112:113]
	v_add_f64_e32 v[122:123], v[68:69], v[106:107]
	v_add_f64_e32 v[128:129], v[70:71], v[108:109]
	v_add_f64_e64 v[134:135], v[110:111], -v[112:113]
	v_add_f64_e32 v[94:95], v[106:107], v[88:89]
	v_add_f64_e32 v[96:97], v[114:115], v[116:117]
	;; [unrolled: 1-line block ×3, first 2 shown]
	v_add_f64_e64 v[124:125], v[108:109], -v[90:91]
	v_add_f64_e64 v[126:127], v[114:115], -v[116:117]
	;; [unrolled: 1-line block ×3, first 2 shown]
	v_add_f64_e32 v[100:101], v[84:85], v[74:75]
	v_add_f64_e32 v[102:103], v[86:87], v[72:73]
	v_add_f64_e64 v[142:143], v[112:113], -v[88:89]
	v_add_f64_e32 v[118:119], v[80:81], v[78:79]
	v_add_f64_e32 v[120:121], v[92:93], v[76:77]
	v_add_f64_e64 v[144:145], v[108:109], -v[114:115]
	v_add_f64_e64 v[146:147], v[90:91], -v[116:117]
	;; [unrolled: 1-line block ×12, first 2 shown]
	v_fma_f64 v[132:133], v[82:83], -0.5, v[68:69]
	v_add_f64_e64 v[82:83], v[92:93], -v[76:77]
	v_add_f64_e32 v[114:115], v[128:129], v[114:115]
	v_fma_f64 v[136:137], v[94:95], -0.5, v[68:69]
	v_fma_f64 v[138:139], v[96:97], -0.5, v[70:71]
	v_add_f64_e64 v[94:95], v[80:81], -v[78:79]
	v_fma_f64 v[140:141], v[98:99], -0.5, v[70:71]
	v_add_f64_e64 v[98:99], v[86:87], -v[72:73]
	v_add_f64_e64 v[96:97], v[84:85], -v[74:75]
	v_fma_f64 v[68:69], v[100:101], -0.5, v[64:65]
	v_fma_f64 v[100:101], v[102:103], -0.5, v[64:65]
	;; [unrolled: 1-line block ×4, first 2 shown]
	v_add_f64_e64 v[118:119], v[106:107], -v[110:111]
	v_add_f64_e64 v[120:121], v[88:89], -v[112:113]
	;; [unrolled: 1-line block ×3, first 2 shown]
	v_add_f64_e32 v[110:111], v[122:123], v[110:111]
	v_fma_f64 v[122:123], v[124:125], s[10:11], v[132:133]
	s_wait_alu 0xfffe
	v_fma_f64 v[128:129], v[124:125], s[12:13], v[132:133]
	v_fma_f64 v[132:133], v[126:127], s[12:13], v[136:137]
	;; [unrolled: 1-line block ×13, first 2 shown]
	s_mov_b32 s12, 0x4755a5e
	s_mov_b32 s13, 0x3fe2cf23
	s_wait_alu 0xfffe
	s_mov_b32 s14, s12
	v_add_f64_e32 v[118:119], v[118:119], v[120:121]
	v_add_f64_e32 v[120:121], v[106:107], v[142:143]
	;; [unrolled: 1-line block ×10, first 2 shown]
	v_fma_f64 v[110:111], v[126:127], s[12:13], v[122:123]
	s_wait_alu 0xfffe
	v_fma_f64 v[112:113], v[126:127], s[14:15], v[128:129]
	v_fma_f64 v[114:115], v[124:125], s[12:13], v[132:133]
	;; [unrolled: 1-line block ×13, first 2 shown]
	s_mov_b32 s14, 0x372fe950
	s_mov_b32 s15, 0x3fd3c6ef
	v_add_f64_e32 v[106:107], v[106:107], v[88:89]
	v_add_f64_e32 v[108:109], v[108:109], v[90:91]
	s_wait_alu 0xfffe
	v_fma_f64 v[110:111], v[118:119], s[14:15], v[110:111]
	v_fma_f64 v[124:125], v[118:119], s[14:15], v[112:113]
	;; [unrolled: 1-line block ×14, first 2 shown]
	v_and_b32_e32 v114, 0xffff, v195
	v_mad_u16 v165, v196, 30, v104
	s_delay_alu instid0(VALU_DEP_2) | instskip(NEXT) | instid1(VALU_DEP_1)
	v_mul_u32_u24_e32 v114, 30, v114
	v_add_lshl_u32 v166, v114, v197, 4
	ds_store_b128 v166, v[106:109]
	ds_store_b128 v166, v[110:113] offset:96
	ds_store_b128 v166, v[128:131] offset:192
	;; [unrolled: 1-line block ×4, first 2 shown]
	s_and_saveexec_b32 s18, s0
	s_cbranch_execz .LBB0_15
; %bb.14:
	v_mul_f64_e32 v[98:99], s[10:11], v[98:99]
	v_add_f64_e32 v[66:67], v[66:67], v[92:93]
	v_add_f64_e32 v[64:65], v[64:65], v[86:87]
	v_mul_f64_e32 v[82:83], s[10:11], v[82:83]
	v_mul_f64_e32 v[92:93], s[12:13], v[96:97]
	v_mul_f64_e32 v[86:87], s[12:13], v[94:95]
	v_add_f64_e64 v[70:71], v[70:71], -v[98:99]
	v_add_f64_e32 v[66:67], v[66:67], v[80:81]
	v_add_f64_e32 v[64:65], v[64:65], v[84:85]
	;; [unrolled: 1-line block ×3, first 2 shown]
	v_mul_f64_e32 v[82:83], s[14:15], v[102:103]
	v_mul_f64_e32 v[80:81], s[14:15], v[100:101]
	v_add_f64_e64 v[70:71], v[70:71], -v[92:93]
	v_add_f64_e32 v[78:79], v[66:67], v[78:79]
	v_add_f64_e32 v[64:65], v[64:65], v[74:75]
	;; [unrolled: 1-line block ×3, first 2 shown]
	s_delay_alu instid0(VALU_DEP_4) | instskip(NEXT) | instid1(VALU_DEP_4)
	v_add_f64_e32 v[66:67], v[82:83], v[70:71]
	v_add_f64_e32 v[70:71], v[78:79], v[76:77]
	s_delay_alu instid0(VALU_DEP_4) | instskip(NEXT) | instid1(VALU_DEP_4)
	v_add_f64_e32 v[68:69], v[64:65], v[72:73]
	v_add_f64_e32 v[64:65], v[80:81], v[74:75]
	v_and_b32_e32 v72, 0xffff, v165
	s_delay_alu instid0(VALU_DEP_1)
	v_lshlrev_b32_e32 v72, 4, v72
	ds_store_b128 v72, v[120:123] offset:192
	ds_store_b128 v72, v[116:119] offset:288
	ds_store_b128 v72, v[68:71]
	ds_store_b128 v72, v[64:67] offset:96
	ds_store_b128 v72, v[88:91] offset:384
.LBB0_15:
	s_or_b32 exec_lo, exec_lo, s18
	v_mul_lo_u16 v64, 0x89, v105
	global_wb scope:SCOPE_SE
	s_wait_dscnt 0x0
	s_barrier_signal -1
	s_barrier_wait -1
	global_inv scope:SCOPE_SE
	v_lshrrev_b16 v148, 12, v64
	s_mov_b32 s12, 0x37e14327
	s_mov_b32 s14, 0xe976ee23
	s_mov_b32 s13, 0x3fe948f6
	s_mov_b32 s15, 0xbfe11646
	v_mul_lo_u16 v64, v148, 30
	s_mov_b32 s10, 0x429ad128
	s_mov_b32 s11, 0x3febfeb5
	;; [unrolled: 1-line block ×4, first 2 shown]
	v_sub_nc_u16 v64, v156, v64
	s_mov_b32 s20, 0xaaaaaaaa
	s_mov_b32 s26, 0xb247c609
	;; [unrolled: 1-line block ×4, first 2 shown]
	v_and_b32_e32 v149, 0xff, v64
	s_mov_b32 s27, 0x3fd5d0dc
	s_mov_b32 s23, 0x3fe77f67
	;; [unrolled: 1-line block ×4, first 2 shown]
	v_mad_co_u64_u32 v[76:77], null, 0x60, v149, s[2:3]
	s_mov_b32 s24, s22
	s_mov_b32 s28, s26
	;; [unrolled: 1-line block ×4, first 2 shown]
	s_clause 0x5
	global_load_b128 v[68:71], v[76:77], off offset:448
	global_load_b128 v[64:67], v[76:77], off offset:464
	;; [unrolled: 1-line block ×6, first 2 shown]
	ds_load_b128 v[92:95], v155 offset:3360
	ds_load_b128 v[96:99], v155 offset:6720
	;; [unrolled: 1-line block ×6, first 2 shown]
	s_wait_loadcnt_dscnt 0x505
	v_mul_f64_e32 v[124:125], v[94:95], v[70:71]
	v_mul_f64_e32 v[126:127], v[92:93], v[70:71]
	s_wait_loadcnt_dscnt 0x404
	v_mul_f64_e32 v[128:129], v[98:99], v[66:67]
	v_mul_f64_e32 v[130:131], v[96:97], v[66:67]
	;; [unrolled: 3-line block ×6, first 2 shown]
	v_fma_f64 v[92:93], v[92:93], v[68:69], -v[124:125]
	v_fma_f64 v[94:95], v[94:95], v[68:69], v[126:127]
	v_fma_f64 v[96:97], v[96:97], v[64:65], -v[128:129]
	v_fma_f64 v[98:99], v[98:99], v[64:65], v[130:131]
	;; [unrolled: 2-line block ×6, first 2 shown]
	v_add_f64_e32 v[124:125], v[92:93], v[100:101]
	v_add_f64_e32 v[126:127], v[94:95], v[102:103]
	;; [unrolled: 1-line block ×4, first 2 shown]
	v_add_f64_e64 v[96:97], v[96:97], -v[104:105]
	v_add_f64_e64 v[98:99], v[98:99], -v[106:107]
	v_add_f64_e32 v[104:105], v[108:109], v[112:113]
	v_add_f64_e32 v[106:107], v[110:111], v[114:115]
	v_add_f64_e64 v[108:109], v[112:113], -v[108:109]
	v_add_f64_e64 v[110:111], v[114:115], -v[110:111]
	;; [unrolled: 1-line block ×4, first 2 shown]
	v_add_f64_e32 v[92:93], v[128:129], v[124:125]
	v_add_f64_e32 v[94:95], v[130:131], v[126:127]
	v_add_f64_e64 v[112:113], v[124:125], -v[104:105]
	v_add_f64_e64 v[114:115], v[126:127], -v[106:107]
	;; [unrolled: 1-line block ×6, first 2 shown]
	v_add_f64_e32 v[96:97], v[108:109], v[96:97]
	v_add_f64_e32 v[98:99], v[110:111], v[98:99]
	v_add_f64_e64 v[108:109], v[100:101], -v[108:109]
	v_add_f64_e64 v[110:111], v[102:103], -v[110:111]
	v_add_f64_e64 v[124:125], v[128:129], -v[124:125]
	v_add_f64_e64 v[126:127], v[130:131], -v[126:127]
	v_add_f64_e32 v[140:141], v[104:105], v[92:93]
	v_add_f64_e32 v[142:143], v[106:107], v[94:95]
	v_add_f64_e64 v[104:105], v[104:105], -v[128:129]
	v_add_f64_e64 v[106:107], v[106:107], -v[130:131]
	ds_load_b128 v[92:95], v155
	s_wait_alu 0xfffe
	v_mul_f64_e32 v[112:113], s[12:13], v[112:113]
	v_mul_f64_e32 v[114:115], s[12:13], v[114:115]
	;; [unrolled: 1-line block ×6, first 2 shown]
	v_add_f64_e32 v[96:97], v[96:97], v[100:101]
	v_add_f64_e32 v[98:99], v[98:99], v[102:103]
	global_wb scope:SCOPE_SE
	s_wait_dscnt 0x0
	s_barrier_signal -1
	s_barrier_wait -1
	global_inv scope:SCOPE_SE
	v_add_f64_e32 v[92:93], v[92:93], v[140:141]
	v_add_f64_e32 v[94:95], v[94:95], v[142:143]
	v_mul_f64_e32 v[128:129], s[18:19], v[104:105]
	v_mul_f64_e32 v[130:131], s[18:19], v[106:107]
	v_fma_f64 v[100:101], v[104:105], s[18:19], v[112:113]
	v_fma_f64 v[102:103], v[106:107], s[18:19], v[114:115]
	v_fma_f64 v[104:105], v[108:109], s[26:27], v[132:133]
	v_fma_f64 v[106:107], v[110:111], s[26:27], v[134:135]
	v_fma_f64 v[132:133], v[136:137], s[10:11], -v[132:133]
	v_fma_f64 v[134:135], v[138:139], s[10:11], -v[134:135]
	;; [unrolled: 1-line block ×6, first 2 shown]
	v_fma_f64 v[136:137], v[140:141], s[20:21], v[92:93]
	v_fma_f64 v[138:139], v[142:143], s[20:21], v[94:95]
	v_fma_f64 v[124:125], v[124:125], s[22:23], -v[128:129]
	v_fma_f64 v[126:127], v[126:127], s[22:23], -v[130:131]
	v_fma_f64 v[128:129], v[96:97], s[30:31], v[104:105]
	v_fma_f64 v[130:131], v[98:99], s[30:31], v[106:107]
	;; [unrolled: 1-line block ×6, first 2 shown]
	v_add_f64_e32 v[144:145], v[100:101], v[136:137]
	v_add_f64_e32 v[146:147], v[102:103], v[138:139]
	;; [unrolled: 1-line block ×7, first 2 shown]
	v_add_f64_e64 v[98:99], v[146:147], -v[128:129]
	v_add_f64_e32 v[100:101], v[142:143], v[112:113]
	v_add_f64_e64 v[102:103], v[114:115], -v[140:141]
	v_add_f64_e64 v[104:105], v[108:109], -v[134:135]
	v_add_f64_e32 v[106:107], v[132:133], v[110:111]
	v_add_f64_e32 v[108:109], v[134:135], v[108:109]
	v_add_f64_e64 v[110:111], v[110:111], -v[132:133]
	v_add_f64_e64 v[112:113], v[112:113], -v[142:143]
	v_add_f64_e32 v[114:115], v[140:141], v[114:115]
	v_add_f64_e64 v[124:125], v[144:145], -v[130:131]
	v_add_f64_e32 v[126:127], v[128:129], v[146:147]
	v_and_b32_e32 v128, 0xffff, v148
	s_delay_alu instid0(VALU_DEP_1) | instskip(SKIP_2) | instid1(VALU_DEP_2)
	v_mul_u32_u24_e32 v130, 0xd2, v128
	v_mad_co_u64_u32 v[128:129], null, 0x60, v156, s[2:3]
	s_add_nc_u64 s[2:3], s[16:17], 0x5be0
	v_add_lshl_u32 v167, v130, v149, 4
	ds_store_b128 v167, v[92:95]
	ds_store_b128 v167, v[96:99] offset:480
	ds_store_b128 v167, v[100:103] offset:960
	ds_store_b128 v167, v[104:107] offset:1440
	ds_store_b128 v167, v[108:111] offset:1920
	ds_store_b128 v167, v[112:115] offset:2400
	ds_store_b128 v167, v[124:127] offset:2880
	global_wb scope:SCOPE_SE
	s_wait_dscnt 0x0
	s_barrier_signal -1
	s_barrier_wait -1
	global_inv scope:SCOPE_SE
	s_clause 0x5
	global_load_b128 v[96:99], v[128:129], off offset:3328
	global_load_b128 v[92:95], v[128:129], off offset:3344
	;; [unrolled: 1-line block ×6, first 2 shown]
	ds_load_b128 v[124:127], v155 offset:3360
	ds_load_b128 v[128:131], v155 offset:6720
	;; [unrolled: 1-line block ×6, first 2 shown]
	s_wait_loadcnt_dscnt 0x505
	v_mul_f64_e32 v[148:149], v[126:127], v[98:99]
	v_mul_f64_e32 v[150:151], v[124:125], v[98:99]
	s_wait_loadcnt_dscnt 0x404
	v_mul_f64_e32 v[168:169], v[130:131], v[94:95]
	v_mul_f64_e32 v[170:171], v[128:129], v[94:95]
	;; [unrolled: 3-line block ×6, first 2 shown]
	v_fma_f64 v[124:125], v[124:125], v[96:97], -v[148:149]
	v_fma_f64 v[126:127], v[126:127], v[96:97], v[150:151]
	v_fma_f64 v[128:129], v[128:129], v[92:93], -v[168:169]
	v_fma_f64 v[130:131], v[130:131], v[92:93], v[170:171]
	;; [unrolled: 2-line block ×6, first 2 shown]
	v_add_f64_e32 v[148:149], v[124:125], v[132:133]
	v_add_f64_e32 v[150:151], v[126:127], v[134:135]
	v_add_f64_e32 v[168:169], v[128:129], v[136:137]
	v_add_f64_e32 v[170:171], v[130:131], v[138:139]
	v_add_f64_e64 v[128:129], v[128:129], -v[136:137]
	v_add_f64_e64 v[130:131], v[130:131], -v[138:139]
	v_add_f64_e32 v[136:137], v[140:141], v[144:145]
	v_add_f64_e32 v[138:139], v[142:143], v[146:147]
	v_add_f64_e64 v[140:141], v[144:145], -v[140:141]
	v_add_f64_e64 v[142:143], v[146:147], -v[142:143]
	;; [unrolled: 1-line block ×4, first 2 shown]
	v_add_f64_e32 v[124:125], v[168:169], v[148:149]
	v_add_f64_e32 v[126:127], v[170:171], v[150:151]
	v_add_f64_e64 v[144:145], v[148:149], -v[136:137]
	v_add_f64_e64 v[146:147], v[150:151], -v[138:139]
	;; [unrolled: 1-line block ×6, first 2 shown]
	v_add_f64_e32 v[184:185], v[140:141], v[128:129]
	v_add_f64_e32 v[186:187], v[142:143], v[130:131]
	v_add_f64_e64 v[140:141], v[132:133], -v[140:141]
	v_add_f64_e64 v[142:143], v[134:135], -v[142:143]
	v_add_f64_e32 v[180:181], v[136:137], v[124:125]
	v_add_f64_e32 v[182:183], v[138:139], v[126:127]
	v_add_f64_e64 v[136:137], v[136:137], -v[168:169]
	v_add_f64_e64 v[138:139], v[138:139], -v[170:171]
	ds_load_b128 v[124:127], v155
	v_mul_f64_e32 v[144:145], s[12:13], v[144:145]
	v_mul_f64_e32 v[146:147], s[12:13], v[146:147]
	;; [unrolled: 1-line block ×6, first 2 shown]
	v_add_f64_e32 v[132:133], v[184:185], v[132:133]
	v_add_f64_e32 v[134:135], v[186:187], v[134:135]
	s_wait_dscnt 0x0
	v_add_f64_e32 v[128:129], v[124:125], v[180:181]
	v_add_f64_e32 v[130:131], v[126:127], v[182:183]
	v_add_f64_e64 v[124:125], v[168:169], -v[148:149]
	v_add_f64_e64 v[126:127], v[170:171], -v[150:151]
	v_mul_f64_e32 v[148:149], s[18:19], v[136:137]
	v_mul_f64_e32 v[150:151], s[18:19], v[138:139]
	v_fma_f64 v[136:137], v[136:137], s[18:19], v[144:145]
	v_fma_f64 v[138:139], v[138:139], s[18:19], v[146:147]
	;; [unrolled: 1-line block ×4, first 2 shown]
	v_fma_f64 v[172:173], v[176:177], s[10:11], -v[172:173]
	v_fma_f64 v[174:175], v[178:179], s[10:11], -v[174:175]
	;; [unrolled: 1-line block ×4, first 2 shown]
	v_fma_f64 v[176:177], v[180:181], s[20:21], v[128:129]
	v_fma_f64 v[178:179], v[182:183], s[20:21], v[130:131]
	v_fma_f64 v[144:145], v[124:125], s[24:25], -v[144:145]
	v_fma_f64 v[146:147], v[126:127], s[24:25], -v[146:147]
	;; [unrolled: 1-line block ×4, first 2 shown]
	v_fma_f64 v[168:169], v[132:133], s[30:31], v[168:169]
	v_fma_f64 v[170:171], v[134:135], s[30:31], v[170:171]
	v_fma_f64 v[148:149], v[132:133], s[30:31], v[172:173]
	v_fma_f64 v[150:151], v[134:135], s[30:31], v[174:175]
	v_fma_f64 v[172:173], v[132:133], s[30:31], v[140:141]
	v_fma_f64 v[174:175], v[134:135], s[30:31], v[142:143]
	v_add_f64_e32 v[180:181], v[136:137], v[176:177]
	v_add_f64_e32 v[182:183], v[138:139], v[178:179]
	;; [unrolled: 1-line block ×7, first 2 shown]
	v_add_f64_e64 v[134:135], v[182:183], -v[168:169]
	v_add_f64_e32 v[136:137], v[174:175], v[184:185]
	v_add_f64_e64 v[138:139], v[186:187], -v[172:173]
	v_add_f64_e64 v[140:141], v[124:125], -v[150:151]
	v_add_f64_e32 v[142:143], v[148:149], v[126:127]
	v_add_f64_e32 v[144:145], v[150:151], v[124:125]
	v_add_f64_e64 v[146:147], v[126:127], -v[148:149]
	v_add_f64_e64 v[148:149], v[184:185], -v[174:175]
	v_add_f64_e32 v[150:151], v[172:173], v[186:187]
	v_add_f64_e64 v[124:125], v[180:181], -v[170:171]
	v_add_f64_e32 v[126:127], v[168:169], v[182:183]
	ds_store_b128 v155, v[128:131]
	ds_store_b128 v155, v[132:135] offset:3360
	ds_store_b128 v155, v[136:139] offset:6720
	;; [unrolled: 1-line block ×6, first 2 shown]
	global_wb scope:SCOPE_SE
	s_wait_dscnt 0x0
	s_barrier_signal -1
	s_barrier_wait -1
	global_inv scope:SCOPE_SE
	s_clause 0x5
	global_load_b128 v[128:131], v[153:154], off offset:23520
	global_load_b128 v[132:135], v155, s[2:3] offset:11760
	global_load_b128 v[136:139], v155, s[2:3] offset:3360
	global_load_b128 v[140:143], v155, s[2:3] offset:15120
	global_load_b128 v[144:147], v155, s[2:3] offset:6720
	global_load_b128 v[148:151], v155, s[2:3] offset:18480
	ds_load_b128 v[168:171], v155
	ds_load_b128 v[172:175], v155 offset:11760
	ds_load_b128 v[176:179], v155 offset:3360
	;; [unrolled: 1-line block ×5, first 2 shown]
	s_wait_loadcnt_dscnt 0x505
	v_mul_f64_e32 v[192:193], v[170:171], v[130:131]
	v_mul_f64_e32 v[130:131], v[168:169], v[130:131]
	s_wait_loadcnt_dscnt 0x404
	v_mul_f64_e32 v[194:195], v[174:175], v[134:135]
	v_mul_f64_e32 v[134:135], v[172:173], v[134:135]
	;; [unrolled: 3-line block ×6, first 2 shown]
	v_fma_f64 v[168:169], v[168:169], v[128:129], -v[192:193]
	v_fma_f64 v[170:171], v[170:171], v[128:129], v[130:131]
	v_fma_f64 v[128:129], v[172:173], v[132:133], -v[194:195]
	v_fma_f64 v[130:131], v[174:175], v[132:133], v[134:135]
	;; [unrolled: 2-line block ×6, first 2 shown]
	ds_store_b128 v155, v[168:171]
	ds_store_b128 v155, v[132:135] offset:3360
	ds_store_b128 v155, v[128:131] offset:11760
	;; [unrolled: 1-line block ×5, first 2 shown]
	s_and_saveexec_b32 s10, vcc_lo
	s_cbranch_execz .LBB0_17
; %bb.16:
	s_wait_alu 0xfffe
	v_add_co_u32 v132, s2, s2, v155
	s_wait_alu 0xf1ff
	v_add_co_ci_u32_e64 v133, null, s3, 0, s2
	s_clause 0x1
	global_load_b128 v[128:131], v[132:133], off offset:10080
	global_load_b128 v[132:135], v[132:133], off offset:21840
	ds_load_b128 v[136:139], v155 offset:10080
	ds_load_b128 v[140:143], v155 offset:21840
	s_wait_loadcnt_dscnt 0x101
	v_mul_f64_e32 v[144:145], v[138:139], v[130:131]
	v_mul_f64_e32 v[130:131], v[136:137], v[130:131]
	s_wait_loadcnt_dscnt 0x0
	v_mul_f64_e32 v[146:147], v[142:143], v[134:135]
	v_mul_f64_e32 v[148:149], v[140:141], v[134:135]
	s_delay_alu instid0(VALU_DEP_4) | instskip(NEXT) | instid1(VALU_DEP_4)
	v_fma_f64 v[134:135], v[136:137], v[128:129], -v[144:145]
	v_fma_f64 v[136:137], v[138:139], v[128:129], v[130:131]
	s_delay_alu instid0(VALU_DEP_4) | instskip(NEXT) | instid1(VALU_DEP_4)
	v_fma_f64 v[128:129], v[140:141], v[132:133], -v[146:147]
	v_fma_f64 v[130:131], v[142:143], v[132:133], v[148:149]
	ds_store_b128 v155, v[134:137] offset:10080
	ds_store_b128 v155, v[128:131] offset:21840
.LBB0_17:
	s_wait_alu 0xfffe
	s_or_b32 exec_lo, exec_lo, s10
	global_wb scope:SCOPE_SE
	s_wait_dscnt 0x0
	s_barrier_signal -1
	s_barrier_wait -1
	global_inv scope:SCOPE_SE
	ds_load_b128 v[128:131], v155
	ds_load_b128 v[136:139], v155 offset:3360
	ds_load_b128 v[148:151], v155 offset:11760
	;; [unrolled: 1-line block ×5, first 2 shown]
	s_and_saveexec_b32 s2, vcc_lo
	s_cbranch_execz .LBB0_19
; %bb.18:
	ds_load_b128 v[124:127], v155 offset:10080
	ds_load_b128 v[120:123], v155 offset:21840
.LBB0_19:
	s_wait_alu 0xfffe
	s_or_b32 exec_lo, exec_lo, s2
	s_wait_dscnt 0x3
	v_add_f64_e64 v[148:149], v[128:129], -v[148:149]
	v_add_f64_e64 v[150:151], v[130:131], -v[150:151]
	s_wait_dscnt 0x0
	v_add_f64_e64 v[168:169], v[140:141], -v[132:133]
	v_add_f64_e64 v[170:171], v[142:143], -v[134:135]
	;; [unrolled: 1-line block ×6, first 2 shown]
	global_wb scope:SCOPE_SE
	s_barrier_signal -1
	s_barrier_wait -1
	global_inv scope:SCOPE_SE
	v_fma_f64 v[128:129], v[128:129], 2.0, -v[148:149]
	v_fma_f64 v[130:131], v[130:131], 2.0, -v[150:151]
	;; [unrolled: 1-line block ×8, first 2 shown]
	ds_store_b128 v159, v[128:131]
	ds_store_b128 v159, v[148:151] offset:16
	ds_store_b128 v160, v[136:139]
	ds_store_b128 v160, v[144:147] offset:16
	ds_store_b128 v161, v[140:143]
	ds_store_b128 v161, v[168:171] offset:16
	s_and_saveexec_b32 s2, vcc_lo
	s_cbranch_execz .LBB0_21
; %bb.20:
	ds_store_b128 v158, v[120:123]
	ds_store_b128 v158, v[132:135] offset:16
.LBB0_21:
	s_wait_alu 0xfffe
	s_or_b32 exec_lo, exec_lo, s2
	global_wb scope:SCOPE_SE
	s_wait_dscnt 0x0
	s_barrier_signal -1
	s_barrier_wait -1
	global_inv scope:SCOPE_SE
	ds_load_b128 v[128:131], v155
	ds_load_b128 v[124:127], v155 offset:3360
	ds_load_b128 v[144:147], v155 offset:7840
	;; [unrolled: 1-line block ×5, first 2 shown]
	s_and_saveexec_b32 s2, s1
	s_cbranch_execz .LBB0_23
; %bb.22:
	ds_load_b128 v[120:123], v155 offset:6720
	ds_load_b128 v[132:135], v155 offset:14560
	;; [unrolled: 1-line block ×3, first 2 shown]
.LBB0_23:
	s_wait_alu 0xfffe
	s_or_b32 exec_lo, exec_lo, s2
	s_wait_dscnt 0x3
	v_mul_f64_e32 v[158:159], v[46:47], v[146:147]
	s_wait_dscnt 0x1
	v_mul_f64_e32 v[160:161], v[42:43], v[150:151]
	v_mul_f64_e32 v[168:169], v[46:47], v[144:145]
	;; [unrolled: 1-line block ×4, first 2 shown]
	s_wait_dscnt 0x0
	v_mul_f64_e32 v[174:175], v[42:43], v[142:143]
	v_mul_f64_e32 v[176:177], v[46:47], v[136:137]
	;; [unrolled: 1-line block ×7, first 2 shown]
	s_mov_b32 s2, 0xe8584caa
	s_mov_b32 s3, 0xbfebb67a
	;; [unrolled: 1-line block ×3, first 2 shown]
	s_wait_alu 0xfffe
	s_mov_b32 s10, s2
	global_wb scope:SCOPE_SE
	s_barrier_signal -1
	s_barrier_wait -1
	global_inv scope:SCOPE_SE
	v_fma_f64 v[144:145], v[44:45], v[144:145], v[158:159]
	v_fma_f64 v[148:149], v[40:41], v[148:149], v[160:161]
	v_fma_f64 v[146:147], v[44:45], v[146:147], -v[168:169]
	v_fma_f64 v[150:151], v[40:41], v[150:151], -v[170:171]
	v_fma_f64 v[136:137], v[44:45], v[136:137], v[172:173]
	v_fma_f64 v[140:141], v[40:41], v[140:141], v[174:175]
	v_fma_f64 v[138:139], v[44:45], v[138:139], -v[176:177]
	v_fma_f64 v[142:143], v[40:41], v[142:143], -v[178:179]
	v_fma_f64 v[132:133], v[44:45], v[132:133], v[180:181]
	v_fma_f64 v[116:117], v[40:41], v[116:117], v[182:183]
	v_fma_f64 v[44:45], v[44:45], v[134:135], -v[46:47]
	v_fma_f64 v[40:41], v[40:41], v[118:119], -v[42:43]
	v_add_f64_e32 v[168:169], v[128:129], v[144:145]
	v_add_f64_e32 v[42:43], v[144:145], v[148:149]
	v_add_f64_e64 v[144:145], v[144:145], -v[148:149]
	v_add_f64_e32 v[46:47], v[146:147], v[150:151]
	v_add_f64_e64 v[170:171], v[146:147], -v[150:151]
	v_add_f64_e32 v[118:119], v[136:137], v[140:141]
	v_add_f64_e32 v[146:147], v[130:131], v[146:147]
	;; [unrolled: 1-line block ×8, first 2 shown]
	v_add_f64_e64 v[182:183], v[138:139], -v[142:143]
	v_add_f64_e64 v[184:185], v[136:137], -v[140:141]
	v_add_f64_e64 v[188:189], v[44:45], -v[40:41]
	v_add_f64_e32 v[174:175], v[126:127], v[138:139]
	v_fma_f64 v[42:43], v[42:43], -0.5, v[128:129]
	v_fma_f64 v[180:181], v[46:47], -0.5, v[130:131]
	;; [unrolled: 1-line block ×3, first 2 shown]
	v_add_f64_e32 v[124:125], v[168:169], v[148:149]
	v_fma_f64 v[186:187], v[134:135], -0.5, v[126:127]
	v_add_f64_e32 v[126:127], v[146:147], v[150:151]
	v_fma_f64 v[120:121], v[158:159], -0.5, v[120:121]
	v_add_f64_e64 v[158:159], v[132:133], -v[116:117]
	v_fma_f64 v[122:123], v[160:161], -0.5, v[122:123]
	v_add_f64_e32 v[128:129], v[172:173], v[140:141]
	v_add_f64_e32 v[44:45], v[176:177], v[116:117]
	;; [unrolled: 1-line block ×4, first 2 shown]
	v_fma_f64 v[132:133], v[170:171], s[2:3], v[42:43]
	s_wait_alu 0xfffe
	v_fma_f64 v[136:137], v[170:171], s[10:11], v[42:43]
	v_fma_f64 v[134:135], v[144:145], s[10:11], v[180:181]
	;; [unrolled: 1-line block ×11, first 2 shown]
	ds_store_b128 v164, v[124:127]
	ds_store_b128 v164, v[132:135] offset:32
	ds_store_b128 v164, v[136:139] offset:64
	ds_store_b128 v163, v[128:131]
	ds_store_b128 v163, v[140:143] offset:32
	ds_store_b128 v163, v[40:43] offset:64
	s_and_saveexec_b32 s2, s1
	s_cbranch_execz .LBB0_25
; %bb.24:
	v_mul_u32_u24_e32 v124, 6, v162
	s_delay_alu instid0(VALU_DEP_1) | instskip(NEXT) | instid1(VALU_DEP_1)
	v_or_b32_e32 v124, v124, v157
	v_lshlrev_b32_e32 v124, 4, v124
	ds_store_b128 v124, v[44:47]
	ds_store_b128 v124, v[116:119] offset:32
	ds_store_b128 v124, v[120:123] offset:64
.LBB0_25:
	s_wait_alu 0xfffe
	s_or_b32 exec_lo, exec_lo, s2
	global_wb scope:SCOPE_SE
	s_wait_dscnt 0x0
	s_barrier_signal -1
	s_barrier_wait -1
	global_inv scope:SCOPE_SE
	ds_load_b128 v[124:127], v155
	ds_load_b128 v[140:143], v155 offset:4704
	ds_load_b128 v[128:131], v155 offset:9408
	;; [unrolled: 1-line block ×4, first 2 shown]
	s_and_saveexec_b32 s1, s0
	s_cbranch_execz .LBB0_27
; %bb.26:
	ds_load_b128 v[40:43], v155 offset:3360
	ds_load_b128 v[44:47], v155 offset:8064
	;; [unrolled: 1-line block ×5, first 2 shown]
.LBB0_27:
	s_wait_alu 0xfffe
	s_or_b32 exec_lo, exec_lo, s1
	s_wait_dscnt 0x3
	v_mul_f64_e32 v[144:145], v[62:63], v[142:143]
	s_wait_dscnt 0x2
	v_mul_f64_e32 v[146:147], v[54:55], v[130:131]
	;; [unrolled: 2-line block ×3, first 2 shown]
	v_mul_f64_e32 v[62:63], v[62:63], v[140:141]
	s_wait_dscnt 0x0
	v_mul_f64_e32 v[150:151], v[58:59], v[138:139]
	v_mul_f64_e32 v[54:55], v[54:55], v[128:129]
	;; [unrolled: 1-line block ×4, first 2 shown]
	s_mov_b32 s2, 0x134454ff
	s_mov_b32 s3, 0xbfee6f0e
	;; [unrolled: 1-line block ×3, first 2 shown]
	s_wait_alu 0xfffe
	s_mov_b32 s10, s2
	s_mov_b32 s14, 0x4755a5e
	;; [unrolled: 1-line block ×4, first 2 shown]
	s_wait_alu 0xfffe
	s_mov_b32 s12, s14
	s_mov_b32 s16, 0x372fe950
	;; [unrolled: 1-line block ×3, first 2 shown]
	global_wb scope:SCOPE_SE
	s_barrier_signal -1
	s_barrier_wait -1
	global_inv scope:SCOPE_SE
	v_fma_f64 v[140:141], v[60:61], v[140:141], v[144:145]
	v_fma_f64 v[128:129], v[52:53], v[128:129], v[146:147]
	v_fma_f64 v[132:133], v[48:49], v[132:133], v[148:149]
	v_fma_f64 v[60:61], v[60:61], v[142:143], -v[62:63]
	v_fma_f64 v[62:63], v[56:57], v[136:137], v[150:151]
	v_fma_f64 v[52:53], v[52:53], v[130:131], -v[54:55]
	v_fma_f64 v[48:49], v[48:49], v[134:135], -v[50:51]
	;; [unrolled: 1-line block ×3, first 2 shown]
	v_add_f64_e32 v[134:135], v[124:125], v[140:141]
	v_add_f64_e32 v[54:55], v[128:129], v[132:133]
	v_add_f64_e32 v[142:143], v[126:127], v[60:61]
	v_add_f64_e32 v[56:57], v[140:141], v[62:63]
	v_add_f64_e64 v[144:145], v[140:141], -v[62:63]
	v_add_f64_e32 v[58:59], v[52:53], v[48:49]
	v_add_f64_e32 v[130:131], v[60:61], v[50:51]
	v_add_f64_e64 v[136:137], v[60:61], -v[50:51]
	v_add_f64_e64 v[138:139], v[52:53], -v[48:49]
	;; [unrolled: 1-line block ×8, first 2 shown]
	v_fma_f64 v[54:55], v[54:55], -0.5, v[124:125]
	v_add_f64_e32 v[52:53], v[142:143], v[52:53]
	v_fma_f64 v[56:57], v[56:57], -0.5, v[124:125]
	v_add_f64_e64 v[124:125], v[128:129], -v[132:133]
	v_fma_f64 v[58:59], v[58:59], -0.5, v[126:127]
	v_fma_f64 v[126:127], v[130:131], -0.5, v[126:127]
	v_add_f64_e64 v[130:131], v[140:141], -v[128:129]
	v_add_f64_e64 v[140:141], v[128:129], -v[140:141]
	v_add_f64_e32 v[128:129], v[134:135], v[128:129]
	v_fma_f64 v[134:135], v[136:137], s[2:3], v[54:55]
	v_fma_f64 v[54:55], v[136:137], s[10:11], v[54:55]
	v_fma_f64 v[142:143], v[138:139], s[10:11], v[56:57]
	v_fma_f64 v[56:57], v[138:139], s[2:3], v[56:57]
	v_fma_f64 v[161:162], v[144:145], s[10:11], v[58:59]
	v_fma_f64 v[163:164], v[124:125], s[2:3], v[126:127]
	v_fma_f64 v[126:127], v[124:125], s[10:11], v[126:127]
	v_fma_f64 v[58:59], v[144:145], s[2:3], v[58:59]
	v_add_f64_e32 v[140:141], v[140:141], v[148:149]
	v_add_f64_e32 v[148:149], v[60:61], v[159:160]
	;; [unrolled: 1-line block ×6, first 2 shown]
	v_fma_f64 v[128:129], v[138:139], s[14:15], v[134:135]
	s_wait_alu 0xfffe
	v_fma_f64 v[54:55], v[138:139], s[12:13], v[54:55]
	v_fma_f64 v[132:133], v[136:137], s[14:15], v[142:143]
	v_fma_f64 v[134:135], v[136:137], s[12:13], v[56:57]
	v_fma_f64 v[136:137], v[124:125], s[12:13], v[161:162]
	v_fma_f64 v[138:139], v[144:145], s[12:13], v[163:164]
	v_fma_f64 v[126:127], v[144:145], s[14:15], v[126:127]
	v_fma_f64 v[58:59], v[124:125], s[14:15], v[58:59]
	v_add_f64_e32 v[48:49], v[60:61], v[62:63]
	v_add_f64_e32 v[50:51], v[52:53], v[50:51]
	v_fma_f64 v[52:53], v[130:131], s[16:17], v[128:129]
	v_fma_f64 v[56:57], v[130:131], s[16:17], v[54:55]
	;; [unrolled: 1-line block ×8, first 2 shown]
	ds_store_b128 v166, v[48:51]
	ds_store_b128 v166, v[52:55] offset:96
	ds_store_b128 v166, v[60:63] offset:192
	;; [unrolled: 1-line block ×4, first 2 shown]
	s_and_saveexec_b32 s1, s0
	s_cbranch_execz .LBB0_29
; %bb.28:
	v_mul_f64_e32 v[48:49], v[38:39], v[116:117]
	v_mul_f64_e32 v[50:51], v[26:27], v[44:45]
	;; [unrolled: 1-line block ×8, first 2 shown]
	v_fma_f64 v[48:49], v[36:37], v[118:119], -v[48:49]
	v_fma_f64 v[46:47], v[24:25], v[46:47], -v[50:51]
	;; [unrolled: 1-line block ×4, first 2 shown]
	v_fma_f64 v[36:37], v[36:37], v[116:117], v[38:39]
	v_fma_f64 v[32:33], v[32:33], v[120:121], v[34:35]
	;; [unrolled: 1-line block ×4, first 2 shown]
	v_add_f64_e32 v[56:57], v[42:43], v[46:47]
	v_add_f64_e32 v[26:27], v[46:47], v[50:51]
	;; [unrolled: 1-line block ×3, first 2 shown]
	v_add_f64_e64 v[60:61], v[46:47], -v[50:51]
	v_add_f64_e32 v[34:35], v[36:37], v[32:33]
	v_add_f64_e32 v[58:59], v[40:41], v[24:25]
	;; [unrolled: 1-line block ×3, first 2 shown]
	v_add_f64_e64 v[44:45], v[36:37], -v[32:33]
	v_add_f64_e64 v[54:55], v[24:25], -v[28:29]
	;; [unrolled: 1-line block ×8, first 2 shown]
	v_fma_f64 v[26:27], v[26:27], -0.5, v[42:43]
	v_fma_f64 v[30:31], v[30:31], -0.5, v[42:43]
	v_add_f64_e64 v[42:43], v[48:49], -v[52:53]
	v_fma_f64 v[34:35], v[34:35], -0.5, v[40:41]
	v_add_f64_e32 v[36:37], v[58:59], v[36:37]
	v_fma_f64 v[38:39], v[38:39], -0.5, v[40:41]
	v_add_f64_e64 v[40:41], v[48:49], -v[46:47]
	v_add_f64_e64 v[46:47], v[46:47], -v[48:49]
	v_add_f64_e32 v[48:49], v[56:57], v[48:49]
	v_fma_f64 v[56:57], v[44:45], s[10:11], v[26:27]
	v_fma_f64 v[26:27], v[44:45], s[2:3], v[26:27]
	;; [unrolled: 1-line block ×8, first 2 shown]
	v_add_f64_e32 v[46:47], v[46:47], v[88:89]
	v_add_f64_e32 v[88:89], v[24:25], v[118:119]
	;; [unrolled: 1-line block ×6, first 2 shown]
	v_fma_f64 v[36:37], v[54:55], s[14:15], v[56:57]
	v_fma_f64 v[48:49], v[54:55], s[12:13], v[26:27]
	;; [unrolled: 1-line block ×8, first 2 shown]
	v_add_f64_e32 v[26:27], v[24:25], v[50:51]
	v_add_f64_e32 v[24:25], v[32:33], v[28:29]
	v_fma_f64 v[30:31], v[40:41], s[16:17], v[36:37]
	v_fma_f64 v[34:35], v[40:41], s[16:17], v[48:49]
	;; [unrolled: 1-line block ×8, first 2 shown]
	v_and_b32_e32 v44, 0xffff, v165
	s_delay_alu instid0(VALU_DEP_1)
	v_lshlrev_b32_e32 v44, 4, v44
	ds_store_b128 v44, v[24:27]
	ds_store_b128 v44, v[40:43] offset:96
	ds_store_b128 v44, v[32:35] offset:192
	;; [unrolled: 1-line block ×4, first 2 shown]
.LBB0_29:
	s_wait_alu 0xfffe
	s_or_b32 exec_lo, exec_lo, s1
	global_wb scope:SCOPE_SE
	s_wait_dscnt 0x0
	s_barrier_signal -1
	s_barrier_wait -1
	global_inv scope:SCOPE_SE
	ds_load_b128 v[24:27], v155 offset:3360
	ds_load_b128 v[28:31], v155 offset:6720
	;; [unrolled: 1-line block ×6, first 2 shown]
	s_mov_b32 s2, 0x37e14327
	s_mov_b32 s10, 0xe976ee23
	;; [unrolled: 1-line block ×14, first 2 shown]
	s_wait_dscnt 0x5
	v_mul_f64_e32 v[48:49], v[70:71], v[26:27]
	v_mul_f64_e32 v[50:51], v[70:71], v[24:25]
	s_wait_dscnt 0x4
	v_mul_f64_e32 v[52:53], v[66:67], v[30:31]
	v_mul_f64_e32 v[54:55], v[66:67], v[28:29]
	;; [unrolled: 3-line block ×6, first 2 shown]
	s_mov_b32 s19, 0xbfe77f67
	s_mov_b32 s23, 0x3fd5d0dc
	s_wait_alu 0xfffe
	s_mov_b32 s18, s16
	s_mov_b32 s22, s20
	;; [unrolled: 1-line block ×4, first 2 shown]
	v_fma_f64 v[24:25], v[68:69], v[24:25], v[48:49]
	v_fma_f64 v[26:27], v[68:69], v[26:27], -v[50:51]
	v_fma_f64 v[28:29], v[64:65], v[28:29], v[52:53]
	v_fma_f64 v[30:31], v[64:65], v[30:31], -v[54:55]
	;; [unrolled: 2-line block ×6, first 2 shown]
	v_add_f64_e32 v[48:49], v[24:25], v[32:33]
	v_add_f64_e32 v[50:51], v[26:27], v[34:35]
	;; [unrolled: 1-line block ×4, first 2 shown]
	v_add_f64_e64 v[28:29], v[28:29], -v[36:37]
	v_add_f64_e64 v[30:31], v[30:31], -v[38:39]
	v_add_f64_e32 v[36:37], v[40:41], v[44:45]
	v_add_f64_e32 v[38:39], v[42:43], v[46:47]
	v_add_f64_e64 v[40:41], v[44:45], -v[40:41]
	v_add_f64_e64 v[42:43], v[46:47], -v[42:43]
	;; [unrolled: 1-line block ×4, first 2 shown]
	v_add_f64_e32 v[24:25], v[52:53], v[48:49]
	v_add_f64_e32 v[26:27], v[54:55], v[50:51]
	v_add_f64_e64 v[44:45], v[48:49], -v[36:37]
	v_add_f64_e64 v[46:47], v[50:51], -v[38:39]
	;; [unrolled: 1-line block ×6, first 2 shown]
	v_add_f64_e32 v[28:29], v[40:41], v[28:29]
	v_add_f64_e32 v[30:31], v[42:43], v[30:31]
	v_add_f64_e64 v[40:41], v[32:33], -v[40:41]
	v_add_f64_e64 v[42:43], v[34:35], -v[42:43]
	;; [unrolled: 1-line block ×4, first 2 shown]
	v_add_f64_e32 v[64:65], v[36:37], v[24:25]
	v_add_f64_e32 v[66:67], v[38:39], v[26:27]
	v_add_f64_e64 v[36:37], v[36:37], -v[52:53]
	v_add_f64_e64 v[38:39], v[38:39], -v[54:55]
	ds_load_b128 v[24:27], v155
	v_mul_f64_e32 v[44:45], s[2:3], v[44:45]
	v_mul_f64_e32 v[46:47], s[2:3], v[46:47]
	;; [unrolled: 1-line block ×6, first 2 shown]
	v_add_f64_e32 v[28:29], v[28:29], v[32:33]
	v_add_f64_e32 v[30:31], v[30:31], v[34:35]
	global_wb scope:SCOPE_SE
	s_wait_dscnt 0x0
	s_barrier_signal -1
	s_barrier_wait -1
	global_inv scope:SCOPE_SE
	v_add_f64_e32 v[24:25], v[24:25], v[64:65]
	v_add_f64_e32 v[26:27], v[26:27], v[66:67]
	v_mul_f64_e32 v[52:53], s[12:13], v[36:37]
	v_mul_f64_e32 v[54:55], s[12:13], v[38:39]
	v_fma_f64 v[32:33], v[36:37], s[12:13], v[44:45]
	v_fma_f64 v[34:35], v[38:39], s[12:13], v[46:47]
	;; [unrolled: 1-line block ×4, first 2 shown]
	v_fma_f64 v[56:57], v[60:61], s[0:1], -v[56:57]
	v_fma_f64 v[58:59], v[62:63], s[0:1], -v[58:59]
	s_wait_alu 0xfffe
	v_fma_f64 v[40:41], v[40:41], s[22:23], -v[68:69]
	v_fma_f64 v[42:43], v[42:43], s[22:23], -v[70:71]
	;; [unrolled: 1-line block ×4, first 2 shown]
	v_fma_f64 v[60:61], v[64:65], s[14:15], v[24:25]
	v_fma_f64 v[62:63], v[66:67], s[14:15], v[26:27]
	v_fma_f64 v[48:49], v[48:49], s[16:17], -v[52:53]
	v_fma_f64 v[50:51], v[50:51], s[16:17], -v[54:55]
	v_fma_f64 v[52:53], v[28:29], s[24:25], v[36:37]
	v_fma_f64 v[54:55], v[30:31], s[24:25], v[38:39]
	;; [unrolled: 1-line block ×6, first 2 shown]
	v_add_f64_e32 v[68:69], v[32:33], v[60:61]
	v_add_f64_e32 v[70:71], v[34:35], v[62:63]
	;; [unrolled: 1-line block ×7, first 2 shown]
	v_add_f64_e64 v[30:31], v[70:71], -v[52:53]
	v_add_f64_e32 v[32:33], v[66:67], v[44:45]
	v_add_f64_e64 v[34:35], v[46:47], -v[64:65]
	v_add_f64_e64 v[36:37], v[40:41], -v[58:59]
	v_add_f64_e32 v[38:39], v[56:57], v[42:43]
	v_add_f64_e32 v[40:41], v[58:59], v[40:41]
	v_add_f64_e64 v[42:43], v[42:43], -v[56:57]
	v_add_f64_e64 v[44:45], v[44:45], -v[66:67]
	v_add_f64_e32 v[46:47], v[64:65], v[46:47]
	v_add_f64_e64 v[48:49], v[68:69], -v[54:55]
	v_add_f64_e32 v[50:51], v[52:53], v[70:71]
	ds_store_b128 v167, v[24:27]
	ds_store_b128 v167, v[28:31] offset:480
	ds_store_b128 v167, v[32:35] offset:960
	;; [unrolled: 1-line block ×6, first 2 shown]
	global_wb scope:SCOPE_SE
	s_wait_dscnt 0x0
	s_barrier_signal -1
	s_barrier_wait -1
	global_inv scope:SCOPE_SE
	ds_load_b128 v[24:27], v155 offset:3360
	ds_load_b128 v[28:31], v155 offset:6720
	;; [unrolled: 1-line block ×6, first 2 shown]
	s_wait_dscnt 0x5
	v_mul_f64_e32 v[48:49], v[98:99], v[26:27]
	v_mul_f64_e32 v[50:51], v[98:99], v[24:25]
	s_wait_dscnt 0x4
	v_mul_f64_e32 v[52:53], v[94:95], v[30:31]
	v_mul_f64_e32 v[54:55], v[94:95], v[28:29]
	;; [unrolled: 3-line block ×6, first 2 shown]
	v_fma_f64 v[24:25], v[96:97], v[24:25], v[48:49]
	v_fma_f64 v[26:27], v[96:97], v[26:27], -v[50:51]
	v_fma_f64 v[28:29], v[92:93], v[28:29], v[52:53]
	v_fma_f64 v[30:31], v[92:93], v[30:31], -v[54:55]
	;; [unrolled: 2-line block ×6, first 2 shown]
	v_add_f64_e32 v[48:49], v[24:25], v[32:33]
	v_add_f64_e32 v[50:51], v[26:27], v[34:35]
	;; [unrolled: 1-line block ×4, first 2 shown]
	v_add_f64_e64 v[28:29], v[28:29], -v[36:37]
	v_add_f64_e64 v[30:31], v[30:31], -v[38:39]
	v_add_f64_e32 v[36:37], v[40:41], v[44:45]
	v_add_f64_e32 v[38:39], v[42:43], v[46:47]
	v_add_f64_e64 v[40:41], v[44:45], -v[40:41]
	v_add_f64_e64 v[42:43], v[46:47], -v[42:43]
	;; [unrolled: 1-line block ×4, first 2 shown]
	v_add_f64_e32 v[24:25], v[52:53], v[48:49]
	v_add_f64_e32 v[26:27], v[54:55], v[50:51]
	v_add_f64_e64 v[44:45], v[48:49], -v[36:37]
	v_add_f64_e64 v[46:47], v[50:51], -v[38:39]
	;; [unrolled: 1-line block ×6, first 2 shown]
	v_add_f64_e32 v[28:29], v[40:41], v[28:29]
	v_add_f64_e32 v[30:31], v[42:43], v[30:31]
	v_add_f64_e64 v[40:41], v[32:33], -v[40:41]
	v_add_f64_e64 v[42:43], v[34:35], -v[42:43]
	;; [unrolled: 1-line block ×4, first 2 shown]
	v_add_f64_e32 v[64:65], v[36:37], v[24:25]
	v_add_f64_e32 v[66:67], v[38:39], v[26:27]
	v_add_f64_e64 v[36:37], v[36:37], -v[52:53]
	v_add_f64_e64 v[38:39], v[38:39], -v[54:55]
	ds_load_b128 v[24:27], v155
	v_mul_f64_e32 v[44:45], s[2:3], v[44:45]
	v_mul_f64_e32 v[46:47], s[2:3], v[46:47]
	;; [unrolled: 1-line block ×6, first 2 shown]
	v_add_f64_e32 v[28:29], v[28:29], v[32:33]
	v_add_f64_e32 v[30:31], v[30:31], v[34:35]
	s_mov_b32 s2, 0x3adcd25f
	s_mov_b32 s3, 0x3f464a89
	s_movk_i32 s10, 0xfdf3
	s_mov_b32 s11, -1
	s_wait_dscnt 0x0
	v_add_f64_e32 v[24:25], v[24:25], v[64:65]
	v_add_f64_e32 v[26:27], v[26:27], v[66:67]
	v_mul_f64_e32 v[52:53], s[12:13], v[36:37]
	v_mul_f64_e32 v[54:55], s[12:13], v[38:39]
	v_fma_f64 v[32:33], v[36:37], s[12:13], v[44:45]
	v_fma_f64 v[34:35], v[38:39], s[12:13], v[46:47]
	;; [unrolled: 1-line block ×4, first 2 shown]
	v_fma_f64 v[56:57], v[60:61], s[0:1], -v[56:57]
	v_fma_f64 v[58:59], v[62:63], s[0:1], -v[58:59]
	;; [unrolled: 1-line block ×6, first 2 shown]
	v_fma_f64 v[60:61], v[64:65], s[14:15], v[24:25]
	v_fma_f64 v[62:63], v[66:67], s[14:15], v[26:27]
	v_fma_f64 v[48:49], v[48:49], s[16:17], -v[52:53]
	v_fma_f64 v[50:51], v[50:51], s[16:17], -v[54:55]
	v_fma_f64 v[52:53], v[28:29], s[24:25], v[36:37]
	v_fma_f64 v[54:55], v[30:31], s[24:25], v[38:39]
	v_fma_f64 v[56:57], v[28:29], s[24:25], v[56:57]
	v_fma_f64 v[58:59], v[30:31], s[24:25], v[58:59]
	v_fma_f64 v[64:65], v[28:29], s[24:25], v[40:41]
	v_fma_f64 v[66:67], v[30:31], s[24:25], v[42:43]
	v_add_f64_e32 v[68:69], v[32:33], v[60:61]
	v_add_f64_e32 v[70:71], v[34:35], v[62:63]
	;; [unrolled: 1-line block ×6, first 2 shown]
	v_mad_co_u64_u32 v[60:61], null, s6, v152, 0
	v_add_f64_e32 v[28:29], v[54:55], v[68:69]
	v_add_f64_e64 v[30:31], v[70:71], -v[52:53]
	v_add_f64_e32 v[32:33], v[66:67], v[44:45]
	v_add_f64_e64 v[34:35], v[46:47], -v[64:65]
	v_add_f64_e64 v[36:37], v[40:41], -v[58:59]
	v_add_f64_e32 v[38:39], v[56:57], v[42:43]
	v_add_f64_e32 v[40:41], v[58:59], v[40:41]
	v_add_f64_e64 v[42:43], v[42:43], -v[56:57]
	v_add_f64_e64 v[44:45], v[44:45], -v[66:67]
	v_add_f64_e32 v[46:47], v[64:65], v[46:47]
	v_add_f64_e64 v[48:49], v[68:69], -v[54:55]
	v_add_f64_e32 v[50:51], v[52:53], v[70:71]
	ds_store_b128 v155, v[24:27]
	ds_store_b128 v155, v[28:31] offset:3360
	ds_store_b128 v155, v[32:35] offset:6720
	ds_store_b128 v155, v[36:39] offset:10080
	ds_store_b128 v155, v[40:43] offset:13440
	ds_store_b128 v155, v[44:47] offset:16800
	ds_store_b128 v155, v[48:51] offset:20160
	global_wb scope:SCOPE_SE
	s_wait_dscnt 0x0
	s_barrier_signal -1
	s_barrier_wait -1
	global_inv scope:SCOPE_SE
	ds_load_b128 v[24:27], v155
	ds_load_b128 v[28:31], v155 offset:11760
	ds_load_b128 v[32:35], v155 offset:3360
	;; [unrolled: 1-line block ×5, first 2 shown]
	s_wait_dscnt 0x5
	v_mul_f64_e32 v[48:49], v[6:7], v[26:27]
	v_mul_f64_e32 v[6:7], v[6:7], v[24:25]
	s_wait_dscnt 0x4
	v_mul_f64_e32 v[50:51], v[2:3], v[30:31]
	v_mul_f64_e32 v[2:3], v[2:3], v[28:29]
	s_wait_dscnt 0x3
	v_mul_f64_e32 v[52:53], v[10:11], v[34:35]
	v_mul_f64_e32 v[10:11], v[10:11], v[32:33]
	s_wait_dscnt 0x2
	v_mul_f64_e32 v[54:55], v[14:15], v[38:39]
	v_mul_f64_e32 v[14:15], v[14:15], v[36:37]
	s_wait_dscnt 0x1
	v_mul_f64_e32 v[56:57], v[18:19], v[42:43]
	v_mul_f64_e32 v[18:19], v[18:19], v[40:41]
	s_wait_dscnt 0x0
	v_mul_f64_e32 v[58:59], v[22:23], v[46:47]
	v_mul_f64_e32 v[22:23], v[22:23], v[44:45]
	v_fma_f64 v[24:25], v[4:5], v[24:25], v[48:49]
	v_fma_f64 v[4:5], v[4:5], v[26:27], -v[6:7]
	v_fma_f64 v[6:7], v[0:1], v[28:29], v[50:51]
	v_fma_f64 v[0:1], v[0:1], v[30:31], -v[2:3]
	;; [unrolled: 2-line block ×6, first 2 shown]
	v_mov_b32_e32 v8, v61
	v_mad_co_u64_u32 v[2:3], null, s4, v156, 0
	s_delay_alu instid0(VALU_DEP_2) | instskip(SKIP_3) | instid1(VALU_DEP_1)
	v_mad_co_u64_u32 v[8:9], null, s7, v152, v[8:9]
	s_mul_u64 s[6:7], s[4:5], 0x2df
	s_wait_alu 0xfffe
	s_lshl_b64 s[6:7], s[6:7], 4
	v_mov_b32_e32 v61, v8
	s_delay_alu instid0(VALU_DEP_1) | instskip(NEXT) | instid1(VALU_DEP_4)
	v_lshlrev_b64_e32 v[42:43], 4, v[60:61]
	v_mad_co_u64_u32 v[9:10], null, s5, v156, v[3:4]
	v_mul_f64_e32 v[4:5], s[2:3], v[4:5]
	v_mul_f64_e32 v[6:7], s[2:3], v[6:7]
	;; [unrolled: 1-line block ×6, first 2 shown]
	v_mov_b32_e32 v3, v9
	v_mul_f64_e32 v[8:9], s[2:3], v[0:1]
	v_add_co_u32 v0, s0, s8, v42
	s_wait_alu 0xf1ff
	v_add_co_ci_u32_e64 v1, s0, s9, v43, s0
	v_lshlrev_b64_e32 v[44:45], 4, v[2:3]
	v_mul_f64_e32 v[2:3], s[2:3], v[24:25]
	v_mul_f64_e32 v[18:19], s[2:3], v[34:35]
	;; [unrolled: 1-line block ×5, first 2 shown]
	v_add_co_u32 v26, s0, v0, v44
	s_wait_alu 0xf1ff
	v_add_co_ci_u32_e64 v27, s0, v1, v45, s0
	s_mul_u64 s[4:5], s[4:5], s[10:11]
	s_wait_alu 0xfffe
	v_add_co_u32 v28, s0, v26, s6
	s_wait_alu 0xf1ff
	v_add_co_ci_u32_e64 v29, s0, s7, v27, s0
	s_lshl_b64 s[4:5], s[4:5], 4
	s_wait_alu 0xfffe
	v_add_co_u32 v30, s0, v28, s4
	s_wait_alu 0xf1ff
	v_add_co_ci_u32_e64 v31, s0, s5, v29, s0
	s_delay_alu instid0(VALU_DEP_2) | instskip(SKIP_1) | instid1(VALU_DEP_2)
	v_add_co_u32 v32, s0, v30, s6
	s_wait_alu 0xf1ff
	v_add_co_ci_u32_e64 v33, s0, s7, v31, s0
	s_delay_alu instid0(VALU_DEP_2) | instskip(SKIP_1) | instid1(VALU_DEP_2)
	;; [unrolled: 4-line block ×3, first 2 shown]
	v_add_co_u32 v0, s0, v34, s6
	s_wait_alu 0xf1ff
	v_add_co_ci_u32_e64 v1, s0, s7, v35, s0
	s_clause 0x4
	global_store_b128 v[26:27], v[2:5], off
	global_store_b128 v[28:29], v[6:9], off
	;; [unrolled: 1-line block ×6, first 2 shown]
	s_and_b32 exec_lo, exec_lo, vcc_lo
	s_cbranch_execz .LBB0_31
; %bb.30:
	s_clause 0x1
	global_load_b128 v[2:5], v[153:154], off offset:10080
	global_load_b128 v[6:9], v[153:154], off offset:21840
	ds_load_b128 v[10:13], v155 offset:10080
	ds_load_b128 v[14:17], v155 offset:21840
	v_add_co_u32 v0, vcc_lo, v0, s4
	s_wait_alu 0xfffd
	v_add_co_ci_u32_e32 v1, vcc_lo, s5, v1, vcc_lo
	s_wait_loadcnt_dscnt 0x101
	v_mul_f64_e32 v[18:19], v[12:13], v[4:5]
	v_mul_f64_e32 v[4:5], v[10:11], v[4:5]
	s_wait_loadcnt_dscnt 0x0
	v_mul_f64_e32 v[20:21], v[16:17], v[8:9]
	v_mul_f64_e32 v[8:9], v[14:15], v[8:9]
	s_delay_alu instid0(VALU_DEP_4) | instskip(NEXT) | instid1(VALU_DEP_4)
	v_fma_f64 v[10:11], v[10:11], v[2:3], v[18:19]
	v_fma_f64 v[4:5], v[2:3], v[12:13], -v[4:5]
	s_delay_alu instid0(VALU_DEP_4) | instskip(NEXT) | instid1(VALU_DEP_4)
	v_fma_f64 v[12:13], v[14:15], v[6:7], v[20:21]
	v_fma_f64 v[8:9], v[6:7], v[16:17], -v[8:9]
	s_delay_alu instid0(VALU_DEP_4) | instskip(NEXT) | instid1(VALU_DEP_4)
	v_mul_f64_e32 v[2:3], s[2:3], v[10:11]
	v_mul_f64_e32 v[4:5], s[2:3], v[4:5]
	s_delay_alu instid0(VALU_DEP_4) | instskip(NEXT) | instid1(VALU_DEP_4)
	v_mul_f64_e32 v[6:7], s[2:3], v[12:13]
	v_mul_f64_e32 v[8:9], s[2:3], v[8:9]
	v_add_co_u32 v10, vcc_lo, v0, s6
	s_wait_alu 0xfffd
	v_add_co_ci_u32_e32 v11, vcc_lo, s7, v1, vcc_lo
	global_store_b128 v[0:1], v[2:5], off
	global_store_b128 v[10:11], v[6:9], off
.LBB0_31:
	s_nop 0
	s_sendmsg sendmsg(MSG_DEALLOC_VGPRS)
	s_endpgm
	.section	.rodata,"a",@progbits
	.p2align	6, 0x0
	.amdhsa_kernel bluestein_single_back_len1470_dim1_dp_op_CI_CI
		.amdhsa_group_segment_fixed_size 23520
		.amdhsa_private_segment_fixed_size 0
		.amdhsa_kernarg_size 104
		.amdhsa_user_sgpr_count 2
		.amdhsa_user_sgpr_dispatch_ptr 0
		.amdhsa_user_sgpr_queue_ptr 0
		.amdhsa_user_sgpr_kernarg_segment_ptr 1
		.amdhsa_user_sgpr_dispatch_id 0
		.amdhsa_user_sgpr_private_segment_size 0
		.amdhsa_wavefront_size32 1
		.amdhsa_uses_dynamic_stack 0
		.amdhsa_enable_private_segment 0
		.amdhsa_system_sgpr_workgroup_id_x 1
		.amdhsa_system_sgpr_workgroup_id_y 0
		.amdhsa_system_sgpr_workgroup_id_z 0
		.amdhsa_system_sgpr_workgroup_info 0
		.amdhsa_system_vgpr_workitem_id 0
		.amdhsa_next_free_vgpr 204
		.amdhsa_next_free_sgpr 32
		.amdhsa_reserve_vcc 1
		.amdhsa_float_round_mode_32 0
		.amdhsa_float_round_mode_16_64 0
		.amdhsa_float_denorm_mode_32 3
		.amdhsa_float_denorm_mode_16_64 3
		.amdhsa_fp16_overflow 0
		.amdhsa_workgroup_processor_mode 1
		.amdhsa_memory_ordered 1
		.amdhsa_forward_progress 0
		.amdhsa_round_robin_scheduling 0
		.amdhsa_exception_fp_ieee_invalid_op 0
		.amdhsa_exception_fp_denorm_src 0
		.amdhsa_exception_fp_ieee_div_zero 0
		.amdhsa_exception_fp_ieee_overflow 0
		.amdhsa_exception_fp_ieee_underflow 0
		.amdhsa_exception_fp_ieee_inexact 0
		.amdhsa_exception_int_div_zero 0
	.end_amdhsa_kernel
	.text
.Lfunc_end0:
	.size	bluestein_single_back_len1470_dim1_dp_op_CI_CI, .Lfunc_end0-bluestein_single_back_len1470_dim1_dp_op_CI_CI
                                        ; -- End function
	.section	.AMDGPU.csdata,"",@progbits
; Kernel info:
; codeLenInByte = 11572
; NumSgprs: 34
; NumVgprs: 204
; ScratchSize: 0
; MemoryBound: 0
; FloatMode: 240
; IeeeMode: 1
; LDSByteSize: 23520 bytes/workgroup (compile time only)
; SGPRBlocks: 4
; VGPRBlocks: 25
; NumSGPRsForWavesPerEU: 34
; NumVGPRsForWavesPerEU: 204
; Occupancy: 7
; WaveLimiterHint : 1
; COMPUTE_PGM_RSRC2:SCRATCH_EN: 0
; COMPUTE_PGM_RSRC2:USER_SGPR: 2
; COMPUTE_PGM_RSRC2:TRAP_HANDLER: 0
; COMPUTE_PGM_RSRC2:TGID_X_EN: 1
; COMPUTE_PGM_RSRC2:TGID_Y_EN: 0
; COMPUTE_PGM_RSRC2:TGID_Z_EN: 0
; COMPUTE_PGM_RSRC2:TIDIG_COMP_CNT: 0
	.text
	.p2alignl 7, 3214868480
	.fill 96, 4, 3214868480
	.type	__hip_cuid_9a145b3bd39bdf4f,@object ; @__hip_cuid_9a145b3bd39bdf4f
	.section	.bss,"aw",@nobits
	.globl	__hip_cuid_9a145b3bd39bdf4f
__hip_cuid_9a145b3bd39bdf4f:
	.byte	0                               ; 0x0
	.size	__hip_cuid_9a145b3bd39bdf4f, 1

	.ident	"AMD clang version 19.0.0git (https://github.com/RadeonOpenCompute/llvm-project roc-6.4.0 25133 c7fe45cf4b819c5991fe208aaa96edf142730f1d)"
	.section	".note.GNU-stack","",@progbits
	.addrsig
	.addrsig_sym __hip_cuid_9a145b3bd39bdf4f
	.amdgpu_metadata
---
amdhsa.kernels:
  - .args:
      - .actual_access:  read_only
        .address_space:  global
        .offset:         0
        .size:           8
        .value_kind:     global_buffer
      - .actual_access:  read_only
        .address_space:  global
        .offset:         8
        .size:           8
        .value_kind:     global_buffer
      - .actual_access:  read_only
        .address_space:  global
        .offset:         16
        .size:           8
        .value_kind:     global_buffer
      - .actual_access:  read_only
        .address_space:  global
        .offset:         24
        .size:           8
        .value_kind:     global_buffer
      - .actual_access:  read_only
        .address_space:  global
        .offset:         32
        .size:           8
        .value_kind:     global_buffer
      - .offset:         40
        .size:           8
        .value_kind:     by_value
      - .address_space:  global
        .offset:         48
        .size:           8
        .value_kind:     global_buffer
      - .address_space:  global
        .offset:         56
        .size:           8
        .value_kind:     global_buffer
      - .address_space:  global
        .offset:         64
        .size:           8
        .value_kind:     global_buffer
      - .address_space:  global
        .offset:         72
        .size:           8
        .value_kind:     global_buffer
      - .offset:         80
        .size:           4
        .value_kind:     by_value
      - .address_space:  global
        .offset:         88
        .size:           8
        .value_kind:     global_buffer
      - .address_space:  global
        .offset:         96
        .size:           8
        .value_kind:     global_buffer
    .group_segment_fixed_size: 23520
    .kernarg_segment_align: 8
    .kernarg_segment_size: 104
    .language:       OpenCL C
    .language_version:
      - 2
      - 0
    .max_flat_workgroup_size: 210
    .name:           bluestein_single_back_len1470_dim1_dp_op_CI_CI
    .private_segment_fixed_size: 0
    .sgpr_count:     34
    .sgpr_spill_count: 0
    .symbol:         bluestein_single_back_len1470_dim1_dp_op_CI_CI.kd
    .uniform_work_group_size: 1
    .uses_dynamic_stack: false
    .vgpr_count:     204
    .vgpr_spill_count: 0
    .wavefront_size: 32
    .workgroup_processor_mode: 1
amdhsa.target:   amdgcn-amd-amdhsa--gfx1201
amdhsa.version:
  - 1
  - 2
...

	.end_amdgpu_metadata
